;; amdgpu-corpus repo=zjin-lcf/HeCBench kind=compiled arch=gfx1250 opt=O3
	.amdgcn_target "amdgcn-amd-amdhsa--gfx1250"
	.amdhsa_code_object_version 6
	.section	.text._Z18benchmark_constantIiEvPii,"axG",@progbits,_Z18benchmark_constantIiEvPii,comdat
	.protected	_Z18benchmark_constantIiEvPii ; -- Begin function _Z18benchmark_constantIiEvPii
	.globl	_Z18benchmark_constantIiEvPii
	.p2align	8
	.type	_Z18benchmark_constantIiEvPii,@function
_Z18benchmark_constantIiEvPii:          ; @_Z18benchmark_constantIiEvPii
; %bb.0:
	s_mov_b32 s5, 0
	s_mov_b32 s2, 4
	s_movk_i32 s8, 0x100
	s_mov_b32 s4, s5
	s_mov_b32 s9, s5
	s_mov_b32 s10, s5
	s_get_pc_i64 s[6:7]
	s_add_nc_u64 s[6:7], s[6:7], constant_data@rel64+4
.LBB0_1:                                ; =>This Inner Loop Header: Depth=1
	s_mov_b32 s3, s5
	s_add_co_i32 s14, s2, 8
	s_add_co_i32 s16, s4, 8
	s_mov_b32 s17, s5
	s_mov_b32 s15, s5
	s_lshl_b64 s[12:13], s[4:5], 2
	s_add_co_i32 s18, s2, 16
	s_add_co_i32 s20, s4, 16
	s_mov_b32 s21, s5
	s_mov_b32 s19, s5
	s_add_co_i32 s22, s2, 24
	s_add_co_i32 s24, s4, 24
	s_mov_b32 s25, s5
	s_mov_b32 s23, s5
	;; [unrolled: 4-line block ×6, first 2 shown]
	s_lshl_b64 s[44:45], s[2:3], 2
	s_lshl_b64 s[16:17], s[16:17], 2
	;; [unrolled: 1-line block ×3, first 2 shown]
	s_add_nc_u64 s[12:13], s[6:7], s[12:13]
	s_lshl_b64 s[20:21], s[20:21], 2
	s_lshl_b64 s[18:19], s[18:19], 2
	;; [unrolled: 1-line block ×12, first 2 shown]
	s_add_nc_u64 s[44:45], s[6:7], s[44:45]
	s_add_nc_u64 s[16:17], s[6:7], s[16:17]
	;; [unrolled: 1-line block ×15, first 2 shown]
	s_clause 0x9
	s_load_b32 s3, s[12:13], 0x0
	s_load_b32 s11, s[44:45], 0x0
	;; [unrolled: 1-line block ×10, first 2 shown]
                                        ; kill: killed $sgpr28_sgpr29
                                        ; kill: killed $sgpr20_sgpr21
                                        ; kill: killed $sgpr12_sgpr13
                                        ; kill: killed $sgpr26_sgpr27
                                        ; kill: killed $sgpr18_sgpr19
                                        ; kill: killed $sgpr44_sgpr45
                                        ; kill: killed $sgpr24_sgpr25
                                        ; kill: killed $sgpr16_sgpr17
                                        ; kill: killed $sgpr22_sgpr23
                                        ; kill: killed $sgpr14_sgpr15
	s_wait_xcnt 0x0
	s_clause 0x5
	s_load_b32 s12, s[34:35], 0x0
	s_load_b32 s13, s[30:31], 0x0
	;; [unrolled: 1-line block ×6, first 2 shown]
	s_wait_kmcnt 0x0
	s_add_co_i32 s3, s3, s9
	s_add_co_i32 s11, s11, s10
	;; [unrolled: 1-line block ×10, first 2 shown]
	s_add_co_i32 s8, s8, -16
	s_add_co_i32 s4, s4, 64
	s_add_co_i32 s2, s2, 64
	;; [unrolled: 1-line block ×8, first 2 shown]
	s_cmp_lg_u32 s8, 0
	s_cbranch_scc1 .LBB0_1
; %bb.2:
	s_mov_b32 s5, 0
	s_add_co_i32 s9, s9, s10
	s_mov_b32 s2, 4
	s_movk_i32 s8, 0x100
	s_mov_b32 s4, s5
	s_mov_b32 s10, s5
	s_get_pc_i64 s[6:7]
	s_add_nc_u64 s[6:7], s[6:7], constant_data@rel64+8
.LBB0_3:                                ; =>This Inner Loop Header: Depth=1
	s_mov_b32 s3, s5
	s_add_co_i32 s14, s2, 8
	s_add_co_i32 s16, s4, 8
	s_mov_b32 s17, s5
	s_mov_b32 s15, s5
	s_lshl_b64 s[12:13], s[4:5], 2
	s_add_co_i32 s18, s2, 16
	s_add_co_i32 s20, s4, 16
	s_mov_b32 s21, s5
	s_mov_b32 s19, s5
	s_add_co_i32 s22, s2, 24
	s_add_co_i32 s24, s4, 24
	s_mov_b32 s25, s5
	s_mov_b32 s23, s5
	;; [unrolled: 4-line block ×6, first 2 shown]
	s_lshl_b64 s[44:45], s[2:3], 2
	s_lshl_b64 s[16:17], s[16:17], 2
	;; [unrolled: 1-line block ×3, first 2 shown]
	s_add_nc_u64 s[12:13], s[6:7], s[12:13]
	s_lshl_b64 s[20:21], s[20:21], 2
	s_lshl_b64 s[18:19], s[18:19], 2
	;; [unrolled: 1-line block ×12, first 2 shown]
	s_add_nc_u64 s[44:45], s[6:7], s[44:45]
	s_add_nc_u64 s[16:17], s[6:7], s[16:17]
	;; [unrolled: 1-line block ×15, first 2 shown]
	s_clause 0x9
	s_load_b32 s3, s[12:13], 0x0
	s_load_b32 s11, s[44:45], 0x0
	;; [unrolled: 1-line block ×10, first 2 shown]
                                        ; kill: killed $sgpr22_sgpr23
                                        ; kill: killed $sgpr14_sgpr15
                                        ; kill: killed $sgpr28_sgpr29
                                        ; kill: killed $sgpr20_sgpr21
                                        ; kill: killed $sgpr12_sgpr13
                                        ; kill: killed $sgpr26_sgpr27
                                        ; kill: killed $sgpr18_sgpr19
                                        ; kill: killed $sgpr44_sgpr45
                                        ; kill: killed $sgpr24_sgpr25
                                        ; kill: killed $sgpr16_sgpr17
	s_wait_xcnt 0x0
	s_clause 0x5
	s_load_b32 s12, s[34:35], 0x0
	s_load_b32 s13, s[30:31], 0x0
	;; [unrolled: 1-line block ×6, first 2 shown]
	s_wait_kmcnt 0x0
	s_add_co_i32 s3, s3, s9
	s_add_co_i32 s11, s11, s10
	;; [unrolled: 1-line block ×10, first 2 shown]
	s_add_co_i32 s8, s8, -16
	s_add_co_i32 s4, s4, 64
	s_add_co_i32 s2, s2, 64
	;; [unrolled: 1-line block ×8, first 2 shown]
	s_cmp_lg_u32 s8, 0
	s_cbranch_scc1 .LBB0_3
; %bb.4:
	s_mov_b32 s5, 0
	s_add_co_i32 s9, s9, s10
	s_mov_b32 s2, 4
	s_movk_i32 s8, 0x100
	s_mov_b32 s4, s5
	s_mov_b32 s10, s5
	s_get_pc_i64 s[6:7]
	s_add_nc_u64 s[6:7], s[6:7], constant_data@rel64+12
.LBB0_5:                                ; =>This Inner Loop Header: Depth=1
	s_mov_b32 s3, s5
	s_add_co_i32 s14, s2, 8
	s_add_co_i32 s16, s4, 8
	s_mov_b32 s17, s5
	s_mov_b32 s15, s5
	s_lshl_b64 s[12:13], s[4:5], 2
	s_add_co_i32 s18, s2, 16
	s_add_co_i32 s20, s4, 16
	s_mov_b32 s21, s5
	s_mov_b32 s19, s5
	s_add_co_i32 s22, s2, 24
	s_add_co_i32 s24, s4, 24
	s_mov_b32 s25, s5
	s_mov_b32 s23, s5
	;; [unrolled: 4-line block ×6, first 2 shown]
	s_lshl_b64 s[44:45], s[2:3], 2
	s_lshl_b64 s[16:17], s[16:17], 2
	;; [unrolled: 1-line block ×3, first 2 shown]
	s_add_nc_u64 s[12:13], s[6:7], s[12:13]
	s_lshl_b64 s[20:21], s[20:21], 2
	s_lshl_b64 s[18:19], s[18:19], 2
	;; [unrolled: 1-line block ×12, first 2 shown]
	s_add_nc_u64 s[44:45], s[6:7], s[44:45]
	s_add_nc_u64 s[16:17], s[6:7], s[16:17]
	;; [unrolled: 1-line block ×15, first 2 shown]
	s_clause 0x9
	s_load_b32 s3, s[12:13], 0x0
	s_load_b32 s11, s[44:45], 0x0
	;; [unrolled: 1-line block ×10, first 2 shown]
                                        ; kill: killed $sgpr26_sgpr27
                                        ; kill: killed $sgpr18_sgpr19
                                        ; kill: killed $sgpr44_sgpr45
                                        ; kill: killed $sgpr24_sgpr25
                                        ; kill: killed $sgpr16_sgpr17
                                        ; kill: killed $sgpr22_sgpr23
                                        ; kill: killed $sgpr14_sgpr15
                                        ; kill: killed $sgpr28_sgpr29
                                        ; kill: killed $sgpr20_sgpr21
                                        ; kill: killed $sgpr12_sgpr13
	s_wait_xcnt 0x0
	s_clause 0x5
	s_load_b32 s12, s[34:35], 0x0
	s_load_b32 s13, s[30:31], 0x0
	;; [unrolled: 1-line block ×6, first 2 shown]
	s_wait_kmcnt 0x0
	s_add_co_i32 s3, s3, s9
	s_add_co_i32 s11, s11, s10
	;; [unrolled: 1-line block ×10, first 2 shown]
	s_add_co_i32 s8, s8, -16
	s_add_co_i32 s4, s4, 64
	s_add_co_i32 s2, s2, 64
	;; [unrolled: 1-line block ×8, first 2 shown]
	s_cmp_lg_u32 s8, 0
	s_cbranch_scc1 .LBB0_5
; %bb.6:
	s_mov_b32 s5, 0
	s_add_co_i32 s8, s9, s10
	s_mov_b32 s2, 4
	s_movk_i32 s10, 0x100
	s_mov_b32 s4, s5
	s_mov_b32 s9, s5
	s_get_pc_i64 s[6:7]
	s_add_nc_u64 s[6:7], s[6:7], constant_data@rel64+16
.LBB0_7:                                ; =>This Inner Loop Header: Depth=1
	s_mov_b32 s3, s5
	s_add_co_i32 s14, s2, 8
	s_add_co_i32 s16, s4, 8
	s_mov_b32 s17, s5
	s_mov_b32 s15, s5
	s_lshl_b64 s[12:13], s[4:5], 2
	s_add_co_i32 s18, s2, 16
	s_add_co_i32 s20, s4, 16
	s_mov_b32 s21, s5
	s_mov_b32 s19, s5
	s_add_co_i32 s22, s2, 24
	s_add_co_i32 s24, s4, 24
	s_mov_b32 s25, s5
	s_mov_b32 s23, s5
	;; [unrolled: 4-line block ×6, first 2 shown]
	s_lshl_b64 s[44:45], s[2:3], 2
	s_lshl_b64 s[16:17], s[16:17], 2
	;; [unrolled: 1-line block ×3, first 2 shown]
	s_add_nc_u64 s[12:13], s[6:7], s[12:13]
	s_lshl_b64 s[20:21], s[20:21], 2
	s_lshl_b64 s[18:19], s[18:19], 2
	;; [unrolled: 1-line block ×12, first 2 shown]
	s_add_nc_u64 s[44:45], s[6:7], s[44:45]
	s_add_nc_u64 s[16:17], s[6:7], s[16:17]
	;; [unrolled: 1-line block ×15, first 2 shown]
	s_clause 0x9
	s_load_b32 s3, s[12:13], 0x0
	s_load_b32 s11, s[44:45], 0x0
	;; [unrolled: 1-line block ×10, first 2 shown]
                                        ; kill: killed $sgpr22_sgpr23
                                        ; kill: killed $sgpr14_sgpr15
                                        ; kill: killed $sgpr28_sgpr29
                                        ; kill: killed $sgpr20_sgpr21
                                        ; kill: killed $sgpr12_sgpr13
                                        ; kill: killed $sgpr26_sgpr27
                                        ; kill: killed $sgpr18_sgpr19
                                        ; kill: killed $sgpr44_sgpr45
                                        ; kill: killed $sgpr24_sgpr25
                                        ; kill: killed $sgpr16_sgpr17
	s_wait_xcnt 0x0
	s_clause 0x5
	s_load_b32 s12, s[34:35], 0x0
	s_load_b32 s13, s[30:31], 0x0
	s_load_b32 s14, s[38:39], 0x0
	s_load_b32 s15, s[36:37], 0x0
	s_load_b32 s16, s[42:43], 0x0
	s_load_b32 s17, s[40:41], 0x0
	s_wait_kmcnt 0x0
	s_add_co_i32 s3, s3, s8
	s_add_co_i32 s11, s11, s9
	;; [unrolled: 1-line block ×10, first 2 shown]
	s_add_co_i32 s10, s10, -16
	s_add_co_i32 s4, s4, 64
	s_add_co_i32 s2, s2, 64
	;; [unrolled: 1-line block ×8, first 2 shown]
	s_cmp_lg_u32 s10, 0
	s_cbranch_scc1 .LBB0_7
; %bb.8:
	s_bfe_u32 s2, ttmp6, 0x4000c
	s_and_b32 s3, ttmp6, 15
	s_add_co_i32 s2, s2, 1
	s_getreg_b32 s4, hwreg(HW_REG_IB_STS2, 6, 4)
	s_mul_i32 s2, ttmp9, s2
	s_delay_alu instid0(SALU_CYCLE_1) | instskip(SKIP_2) | instid1(SALU_CYCLE_1)
	s_add_co_i32 s3, s3, s2
	s_cmp_eq_u32 s4, 0
	s_cselect_b32 s2, ttmp9, s3
	v_or_b32_e32 v0, s2, v0
	s_mov_b32 s2, exec_lo
	s_delay_alu instid0(VALU_DEP_1)
	v_cmpx_eq_u32_e32 0, v0
	s_cbranch_execz .LBB0_10
; %bb.9:
	s_load_b64 s[0:1], s[0:1], 0x0
	s_add_co_i32 s2, s8, s9
	s_delay_alu instid0(SALU_CYCLE_1)
	v_dual_mov_b32 v0, 0 :: v_dual_mov_b32 v1, s2
	s_wait_kmcnt 0x0
	global_store_b32 v0, v1, s[0:1]
.LBB0_10:
	s_endpgm
	.section	.rodata,"a",@progbits
	.p2align	6, 0x0
	.amdhsa_kernel _Z18benchmark_constantIiEvPii
		.amdhsa_group_segment_fixed_size 0
		.amdhsa_private_segment_fixed_size 0
		.amdhsa_kernarg_size 12
		.amdhsa_user_sgpr_count 2
		.amdhsa_user_sgpr_dispatch_ptr 0
		.amdhsa_user_sgpr_queue_ptr 0
		.amdhsa_user_sgpr_kernarg_segment_ptr 1
		.amdhsa_user_sgpr_dispatch_id 0
		.amdhsa_user_sgpr_kernarg_preload_length 0
		.amdhsa_user_sgpr_kernarg_preload_offset 0
		.amdhsa_user_sgpr_private_segment_size 0
		.amdhsa_wavefront_size32 1
		.amdhsa_uses_dynamic_stack 0
		.amdhsa_enable_private_segment 0
		.amdhsa_system_sgpr_workgroup_id_x 1
		.amdhsa_system_sgpr_workgroup_id_y 0
		.amdhsa_system_sgpr_workgroup_id_z 0
		.amdhsa_system_sgpr_workgroup_info 0
		.amdhsa_system_vgpr_workitem_id 0
		.amdhsa_next_free_vgpr 2
		.amdhsa_next_free_sgpr 53
		.amdhsa_named_barrier_count 0
		.amdhsa_reserve_vcc 0
		.amdhsa_float_round_mode_32 0
		.amdhsa_float_round_mode_16_64 0
		.amdhsa_float_denorm_mode_32 3
		.amdhsa_float_denorm_mode_16_64 3
		.amdhsa_fp16_overflow 0
		.amdhsa_memory_ordered 1
		.amdhsa_forward_progress 1
		.amdhsa_inst_pref_size 17
		.amdhsa_round_robin_scheduling 0
		.amdhsa_exception_fp_ieee_invalid_op 0
		.amdhsa_exception_fp_denorm_src 0
		.amdhsa_exception_fp_ieee_div_zero 0
		.amdhsa_exception_fp_ieee_overflow 0
		.amdhsa_exception_fp_ieee_underflow 0
		.amdhsa_exception_fp_ieee_inexact 0
		.amdhsa_exception_int_div_zero 0
	.end_amdhsa_kernel
	.section	.text._Z18benchmark_constantIiEvPii,"axG",@progbits,_Z18benchmark_constantIiEvPii,comdat
.Lfunc_end0:
	.size	_Z18benchmark_constantIiEvPii, .Lfunc_end0-_Z18benchmark_constantIiEvPii
                                        ; -- End function
	.set _Z18benchmark_constantIiEvPii.num_vgpr, 2
	.set _Z18benchmark_constantIiEvPii.num_agpr, 0
	.set _Z18benchmark_constantIiEvPii.numbered_sgpr, 53
	.set _Z18benchmark_constantIiEvPii.num_named_barrier, 0
	.set _Z18benchmark_constantIiEvPii.private_seg_size, 0
	.set _Z18benchmark_constantIiEvPii.uses_vcc, 0
	.set _Z18benchmark_constantIiEvPii.uses_flat_scratch, 0
	.set _Z18benchmark_constantIiEvPii.has_dyn_sized_stack, 0
	.set _Z18benchmark_constantIiEvPii.has_recursion, 0
	.set _Z18benchmark_constantIiEvPii.has_indirect_call, 0
	.section	.AMDGPU.csdata,"",@progbits
; Kernel info:
; codeLenInByte = 2152
; TotalNumSgprs: 53
; NumVgprs: 2
; ScratchSize: 0
; MemoryBound: 0
; FloatMode: 240
; IeeeMode: 1
; LDSByteSize: 0 bytes/workgroup (compile time only)
; SGPRBlocks: 0
; VGPRBlocks: 0
; NumSGPRsForWavesPerEU: 53
; NumVGPRsForWavesPerEU: 2
; NamedBarCnt: 0
; Occupancy: 16
; WaveLimiterHint : 0
; COMPUTE_PGM_RSRC2:SCRATCH_EN: 0
; COMPUTE_PGM_RSRC2:USER_SGPR: 2
; COMPUTE_PGM_RSRC2:TRAP_HANDLER: 0
; COMPUTE_PGM_RSRC2:TGID_X_EN: 1
; COMPUTE_PGM_RSRC2:TGID_Y_EN: 0
; COMPUTE_PGM_RSRC2:TGID_Z_EN: 0
; COMPUTE_PGM_RSRC2:TIDIG_COMP_CNT: 0
	.section	.text._Z18benchmark_constantI15HIP_vector_typeIiLj2EEEvPii,"axG",@progbits,_Z18benchmark_constantI15HIP_vector_typeIiLj2EEEvPii,comdat
	.protected	_Z18benchmark_constantI15HIP_vector_typeIiLj2EEEvPii ; -- Begin function _Z18benchmark_constantI15HIP_vector_typeIiLj2EEEvPii
	.globl	_Z18benchmark_constantI15HIP_vector_typeIiLj2EEEvPii
	.p2align	8
	.type	_Z18benchmark_constantI15HIP_vector_typeIiLj2EEEvPii,@function
_Z18benchmark_constantI15HIP_vector_typeIiLj2EEEvPii: ; @_Z18benchmark_constantI15HIP_vector_typeIiLj2EEEvPii
; %bb.0:
	s_mov_b32 s5, 0
	s_mov_b32 s2, 4
	s_movk_i32 s14, 0x80
	s_mov_b32 s4, s5
	s_mov_b32 s15, s5
	;; [unrolled: 1-line block ×5, first 2 shown]
	s_get_pc_i64 s[6:7]
	s_add_nc_u64 s[6:7], s[6:7], constant_data@rel64+4
.LBB1_1:                                ; =>This Inner Loop Header: Depth=1
	s_lshl_b64 s[8:9], s[4:5], 3
	s_mov_b32 s3, s5
	s_add_nc_u64 s[8:9], s[6:7], s[8:9]
	s_add_co_i32 s10, s2, 8
	s_load_b64 s[8:9], s[8:9], 0x0
	s_add_co_i32 s12, s4, 8
	s_mov_b32 s13, s5
	s_mov_b32 s11, s5
	s_add_co_i32 s20, s2, 16
	s_add_co_i32 s22, s4, 16
	s_mov_b32 s23, s5
	s_mov_b32 s21, s5
	s_add_co_i32 s24, s2, 24
	;; [unrolled: 4-line block ×6, first 2 shown]
	s_add_co_i32 s44, s4, 56
	s_mov_b32 s45, s5
	s_mov_b32 s43, s5
	s_lshl_b64 s[46:47], s[2:3], 3
	s_lshl_b64 s[12:13], s[12:13], 3
	;; [unrolled: 1-line block ×15, first 2 shown]
	s_add_nc_u64 s[46:47], s[6:7], s[46:47]
	s_add_nc_u64 s[12:13], s[6:7], s[12:13]
	;; [unrolled: 1-line block ×15, first 2 shown]
	s_clause 0x3
	s_load_b64 s[48:49], s[46:47], 0x0
	s_load_b64 s[50:51], s[12:13], 0x0
	;; [unrolled: 1-line block ×4, first 2 shown]
                                        ; kill: killed $sgpr12_sgpr13
                                        ; kill: killed $sgpr22_sgpr23
                                        ; kill: killed $sgpr46_sgpr47
                                        ; kill: killed $sgpr10_sgpr11
	s_wait_xcnt 0x0
	s_clause 0x3
	s_load_b64 s[10:11], s[20:21], 0x0
	s_load_b64 s[12:13], s[26:27], 0x0
	;; [unrolled: 1-line block ×4, first 2 shown]
                                        ; kill: killed $sgpr26_sgpr27
                                        ; kill: killed $sgpr30_sgpr31
                                        ; kill: killed $sgpr20_sgpr21
                                        ; kill: killed $sgpr24_sgpr25
	s_wait_xcnt 0x0
	s_clause 0x3
	s_load_b64 s[20:21], s[28:29], 0x0
	s_load_b64 s[24:25], s[36:37], 0x0
	;; [unrolled: 1-line block ×4, first 2 shown]
                                        ; kill: killed $sgpr36_sgpr37
                                        ; kill: killed $sgpr40_sgpr41
                                        ; kill: killed $sgpr28_sgpr29
                                        ; kill: killed $sgpr34_sgpr35
	s_wait_xcnt 0x0
	s_clause 0x2
	s_load_b64 s[28:29], s[38:39], 0x0
	s_load_b64 s[34:35], s[44:45], 0x0
	;; [unrolled: 1-line block ×3, first 2 shown]
	s_wait_kmcnt 0x0
	s_add_co_i32 s3, s8, s15
	s_add_co_i32 s8, s9, s17
	;; [unrolled: 1-line block ×28, first 2 shown]
	s_add_co_i32 s14, s14, -16
	s_add_co_i32 s4, s4, 64
	s_add_co_i32 s2, s2, 64
	;; [unrolled: 1-line block ×6, first 2 shown]
	s_cmp_lg_u32 s14, 0
	s_cbranch_scc1 .LBB1_1
; %bb.2:
	s_mov_b32 s5, 0
	s_add_co_i32 s15, s15, s16
	s_add_co_i32 s16, s17, s18
	s_mov_b32 s2, 4
	s_movk_i32 s14, 0x80
	s_mov_b32 s4, s5
	s_mov_b32 s17, s5
	s_mov_b32 s18, s5
	s_get_pc_i64 s[6:7]
	s_add_nc_u64 s[6:7], s[6:7], constant_data@rel64+12
.LBB1_3:                                ; =>This Inner Loop Header: Depth=1
	s_lshl_b64 s[8:9], s[4:5], 3
	s_mov_b32 s3, s5
	s_add_nc_u64 s[8:9], s[6:7], s[8:9]
	s_add_co_i32 s10, s2, 8
	s_load_b64 s[8:9], s[8:9], 0x0
	s_add_co_i32 s12, s4, 8
	s_mov_b32 s13, s5
	s_mov_b32 s11, s5
	s_add_co_i32 s20, s2, 16
	s_add_co_i32 s22, s4, 16
	s_mov_b32 s23, s5
	s_mov_b32 s21, s5
	s_add_co_i32 s24, s2, 24
	;; [unrolled: 4-line block ×6, first 2 shown]
	s_add_co_i32 s44, s4, 56
	s_mov_b32 s45, s5
	s_mov_b32 s43, s5
	s_lshl_b64 s[46:47], s[2:3], 3
	s_lshl_b64 s[12:13], s[12:13], 3
	;; [unrolled: 1-line block ×15, first 2 shown]
	s_add_nc_u64 s[46:47], s[6:7], s[46:47]
	s_add_nc_u64 s[12:13], s[6:7], s[12:13]
	;; [unrolled: 1-line block ×15, first 2 shown]
	s_clause 0x3
	s_load_b64 s[48:49], s[46:47], 0x0
	s_load_b64 s[50:51], s[12:13], 0x0
	;; [unrolled: 1-line block ×4, first 2 shown]
                                        ; kill: killed $sgpr12_sgpr13
                                        ; kill: killed $sgpr22_sgpr23
                                        ; kill: killed $sgpr46_sgpr47
                                        ; kill: killed $sgpr10_sgpr11
	s_wait_xcnt 0x0
	s_clause 0x3
	s_load_b64 s[10:11], s[20:21], 0x0
	s_load_b64 s[12:13], s[26:27], 0x0
	;; [unrolled: 1-line block ×4, first 2 shown]
                                        ; kill: killed $sgpr26_sgpr27
                                        ; kill: killed $sgpr30_sgpr31
                                        ; kill: killed $sgpr20_sgpr21
                                        ; kill: killed $sgpr24_sgpr25
	s_wait_xcnt 0x0
	s_clause 0x3
	s_load_b64 s[20:21], s[28:29], 0x0
	s_load_b64 s[24:25], s[36:37], 0x0
	;; [unrolled: 1-line block ×4, first 2 shown]
                                        ; kill: killed $sgpr36_sgpr37
                                        ; kill: killed $sgpr40_sgpr41
                                        ; kill: killed $sgpr28_sgpr29
                                        ; kill: killed $sgpr34_sgpr35
	s_wait_xcnt 0x0
	s_clause 0x2
	s_load_b64 s[28:29], s[38:39], 0x0
	s_load_b64 s[34:35], s[44:45], 0x0
	s_load_b64 s[36:37], s[42:43], 0x0
	s_wait_kmcnt 0x0
	s_add_co_i32 s3, s8, s15
	s_add_co_i32 s8, s9, s16
	s_add_co_i32 s9, s48, s17
	s_add_co_i32 s15, s49, s18
	s_add_co_i32 s3, s50, s3
	s_add_co_i32 s8, s51, s8
	s_add_co_i32 s9, s52, s9
	s_add_co_i32 s15, s53, s15
	s_add_co_i32 s3, s54, s3
	s_add_co_i32 s8, s55, s8
	s_add_co_i32 s9, s10, s9
	s_add_co_i32 s10, s11, s15
	s_add_co_i32 s3, s12, s3
	s_add_co_i32 s8, s13, s8
	s_add_co_i32 s9, s22, s9
	s_add_co_i32 s10, s23, s10
	s_add_co_i32 s3, s46, s3
	s_add_co_i32 s8, s47, s8
	s_add_co_i32 s9, s20, s9
	s_add_co_i32 s10, s21, s10
	s_add_co_i32 s3, s24, s3
	s_add_co_i32 s8, s25, s8
	s_add_co_i32 s9, s26, s9
	s_add_co_i32 s10, s27, s10
	s_add_co_i32 s3, s30, s3
	s_add_co_i32 s8, s31, s8
	s_add_co_i32 s9, s28, s9
	s_add_co_i32 s10, s29, s10
	s_add_co_i32 s14, s14, -16
	s_add_co_i32 s4, s4, 64
	s_add_co_i32 s2, s2, 64
	;; [unrolled: 1-line block ×6, first 2 shown]
	s_cmp_lg_u32 s14, 0
	s_cbranch_scc1 .LBB1_3
; %bb.4:
	s_mov_b32 s5, 0
	s_add_co_i32 s15, s15, s17
	s_add_co_i32 s16, s16, s18
	s_mov_b32 s2, 4
	s_movk_i32 s14, 0x80
	s_mov_b32 s4, s5
	s_mov_b32 s17, s5
	;; [unrolled: 1-line block ×3, first 2 shown]
	s_get_pc_i64 s[6:7]
	s_add_nc_u64 s[6:7], s[6:7], constant_data@rel64+20
.LBB1_5:                                ; =>This Inner Loop Header: Depth=1
	s_lshl_b64 s[8:9], s[4:5], 3
	s_mov_b32 s3, s5
	s_add_nc_u64 s[8:9], s[6:7], s[8:9]
	s_add_co_i32 s10, s2, 8
	s_load_b64 s[8:9], s[8:9], 0x0
	s_add_co_i32 s12, s4, 8
	s_mov_b32 s13, s5
	s_mov_b32 s11, s5
	s_add_co_i32 s20, s2, 16
	s_add_co_i32 s22, s4, 16
	s_mov_b32 s23, s5
	s_mov_b32 s21, s5
	s_add_co_i32 s24, s2, 24
	;; [unrolled: 4-line block ×6, first 2 shown]
	s_add_co_i32 s44, s4, 56
	s_mov_b32 s45, s5
	s_mov_b32 s43, s5
	s_lshl_b64 s[46:47], s[2:3], 3
	s_lshl_b64 s[12:13], s[12:13], 3
	;; [unrolled: 1-line block ×15, first 2 shown]
	s_add_nc_u64 s[46:47], s[6:7], s[46:47]
	s_add_nc_u64 s[12:13], s[6:7], s[12:13]
	;; [unrolled: 1-line block ×15, first 2 shown]
	s_clause 0x3
	s_load_b64 s[48:49], s[46:47], 0x0
	s_load_b64 s[50:51], s[12:13], 0x0
	;; [unrolled: 1-line block ×4, first 2 shown]
                                        ; kill: killed $sgpr12_sgpr13
                                        ; kill: killed $sgpr22_sgpr23
                                        ; kill: killed $sgpr46_sgpr47
                                        ; kill: killed $sgpr10_sgpr11
	s_wait_xcnt 0x0
	s_clause 0x3
	s_load_b64 s[10:11], s[20:21], 0x0
	s_load_b64 s[12:13], s[26:27], 0x0
	;; [unrolled: 1-line block ×4, first 2 shown]
                                        ; kill: killed $sgpr24_sgpr25
                                        ; kill: killed $sgpr26_sgpr27
                                        ; kill: killed $sgpr30_sgpr31
                                        ; kill: killed $sgpr20_sgpr21
	s_wait_xcnt 0x0
	s_clause 0x3
	s_load_b64 s[20:21], s[28:29], 0x0
	s_load_b64 s[24:25], s[36:37], 0x0
	;; [unrolled: 1-line block ×4, first 2 shown]
                                        ; kill: killed $sgpr28_sgpr29
                                        ; kill: killed $sgpr34_sgpr35
                                        ; kill: killed $sgpr36_sgpr37
                                        ; kill: killed $sgpr40_sgpr41
	s_wait_xcnt 0x0
	s_clause 0x2
	s_load_b64 s[28:29], s[38:39], 0x0
	s_load_b64 s[34:35], s[44:45], 0x0
	;; [unrolled: 1-line block ×3, first 2 shown]
	s_wait_kmcnt 0x0
	s_add_co_i32 s3, s8, s15
	s_add_co_i32 s8, s9, s16
	;; [unrolled: 1-line block ×28, first 2 shown]
	s_add_co_i32 s14, s14, -16
	s_add_co_i32 s4, s4, 64
	s_add_co_i32 s2, s2, 64
	;; [unrolled: 1-line block ×6, first 2 shown]
	s_cmp_lg_u32 s14, 0
	s_cbranch_scc1 .LBB1_5
; %bb.6:
	s_mov_b32 s5, 0
	s_add_co_i32 s15, s15, s17
	s_add_co_i32 s16, s16, s18
	s_mov_b32 s2, 4
	s_movk_i32 s14, 0x80
	s_mov_b32 s4, s5
	s_mov_b32 s17, s5
	;; [unrolled: 1-line block ×3, first 2 shown]
	s_get_pc_i64 s[6:7]
	s_add_nc_u64 s[6:7], s[6:7], constant_data@rel64+28
.LBB1_7:                                ; =>This Inner Loop Header: Depth=1
	s_lshl_b64 s[8:9], s[4:5], 3
	s_mov_b32 s3, s5
	s_add_nc_u64 s[8:9], s[6:7], s[8:9]
	s_add_co_i32 s10, s2, 8
	s_load_b64 s[8:9], s[8:9], 0x0
	s_add_co_i32 s12, s4, 8
	s_mov_b32 s13, s5
	s_mov_b32 s11, s5
	s_add_co_i32 s20, s2, 16
	s_add_co_i32 s22, s4, 16
	s_mov_b32 s23, s5
	s_mov_b32 s21, s5
	s_add_co_i32 s24, s2, 24
	;; [unrolled: 4-line block ×6, first 2 shown]
	s_add_co_i32 s44, s4, 56
	s_mov_b32 s45, s5
	s_mov_b32 s43, s5
	s_lshl_b64 s[46:47], s[2:3], 3
	s_lshl_b64 s[12:13], s[12:13], 3
	;; [unrolled: 1-line block ×15, first 2 shown]
	s_add_nc_u64 s[46:47], s[6:7], s[46:47]
	s_add_nc_u64 s[12:13], s[6:7], s[12:13]
	s_add_nc_u64 s[10:11], s[6:7], s[10:11]
	s_add_nc_u64 s[22:23], s[6:7], s[22:23]
	s_add_nc_u64 s[20:21], s[6:7], s[20:21]
	s_add_nc_u64 s[26:27], s[6:7], s[26:27]
	s_add_nc_u64 s[24:25], s[6:7], s[24:25]
	s_add_nc_u64 s[30:31], s[6:7], s[30:31]
	s_add_nc_u64 s[28:29], s[6:7], s[28:29]
	s_add_nc_u64 s[36:37], s[6:7], s[36:37]
	s_add_nc_u64 s[34:35], s[6:7], s[34:35]
	s_add_nc_u64 s[40:41], s[6:7], s[40:41]
	s_add_nc_u64 s[38:39], s[6:7], s[38:39]
	s_add_nc_u64 s[44:45], s[6:7], s[44:45]
	s_add_nc_u64 s[42:43], s[6:7], s[42:43]
	s_clause 0x3
	s_load_b64 s[48:49], s[46:47], 0x0
	s_load_b64 s[50:51], s[12:13], 0x0
	;; [unrolled: 1-line block ×4, first 2 shown]
                                        ; kill: killed $sgpr46_sgpr47
                                        ; kill: killed $sgpr10_sgpr11
                                        ; kill: killed $sgpr12_sgpr13
                                        ; kill: killed $sgpr22_sgpr23
	s_wait_xcnt 0x0
	s_clause 0x3
	s_load_b64 s[10:11], s[20:21], 0x0
	s_load_b64 s[12:13], s[26:27], 0x0
	;; [unrolled: 1-line block ×4, first 2 shown]
                                        ; kill: killed $sgpr20_sgpr21
                                        ; kill: killed $sgpr24_sgpr25
                                        ; kill: killed $sgpr26_sgpr27
                                        ; kill: killed $sgpr30_sgpr31
	s_wait_xcnt 0x0
	s_clause 0x3
	s_load_b64 s[20:21], s[28:29], 0x0
	s_load_b64 s[24:25], s[36:37], 0x0
	;; [unrolled: 1-line block ×4, first 2 shown]
                                        ; kill: killed $sgpr28_sgpr29
                                        ; kill: killed $sgpr34_sgpr35
                                        ; kill: killed $sgpr36_sgpr37
                                        ; kill: killed $sgpr40_sgpr41
	s_wait_xcnt 0x0
	s_clause 0x2
	s_load_b64 s[28:29], s[38:39], 0x0
	s_load_b64 s[34:35], s[44:45], 0x0
	;; [unrolled: 1-line block ×3, first 2 shown]
	s_wait_kmcnt 0x0
	s_add_co_i32 s3, s8, s15
	s_add_co_i32 s8, s9, s16
	s_add_co_i32 s9, s48, s17
	s_add_co_i32 s15, s49, s18
	s_add_co_i32 s3, s50, s3
	s_add_co_i32 s8, s51, s8
	s_add_co_i32 s9, s52, s9
	s_add_co_i32 s15, s53, s15
	s_add_co_i32 s3, s54, s3
	s_add_co_i32 s8, s55, s8
	s_add_co_i32 s9, s10, s9
	s_add_co_i32 s10, s11, s15
	s_add_co_i32 s3, s12, s3
	s_add_co_i32 s8, s13, s8
	s_add_co_i32 s9, s22, s9
	s_add_co_i32 s10, s23, s10
	s_add_co_i32 s3, s46, s3
	s_add_co_i32 s8, s47, s8
	s_add_co_i32 s9, s20, s9
	s_add_co_i32 s10, s21, s10
	s_add_co_i32 s3, s24, s3
	s_add_co_i32 s8, s25, s8
	s_add_co_i32 s9, s26, s9
	s_add_co_i32 s10, s27, s10
	s_add_co_i32 s3, s30, s3
	s_add_co_i32 s8, s31, s8
	s_add_co_i32 s9, s28, s9
	s_add_co_i32 s10, s29, s10
	s_add_co_i32 s14, s14, -16
	s_add_co_i32 s4, s4, 64
	s_add_co_i32 s2, s2, 64
	;; [unrolled: 1-line block ×6, first 2 shown]
	s_cmp_lg_u32 s14, 0
	s_cbranch_scc1 .LBB1_7
; %bb.8:
	s_bfe_u32 s2, ttmp6, 0x4000c
	s_and_b32 s3, ttmp6, 15
	s_add_co_i32 s2, s2, 1
	s_getreg_b32 s4, hwreg(HW_REG_IB_STS2, 6, 4)
	s_mul_i32 s2, ttmp9, s2
	s_delay_alu instid0(SALU_CYCLE_1) | instskip(SKIP_2) | instid1(SALU_CYCLE_1)
	s_add_co_i32 s3, s3, s2
	s_cmp_eq_u32 s4, 0
	s_cselect_b32 s2, ttmp9, s3
	v_or_b32_e32 v0, s2, v0
	s_mov_b32 s2, exec_lo
	s_delay_alu instid0(VALU_DEP_1)
	v_cmpx_eq_u32_e32 0, v0
	s_cbranch_execz .LBB1_10
; %bb.9:
	s_load_b64 s[0:1], s[0:1], 0x0
	s_add_co_i32 s2, s17, s18
	s_add_co_i32 s3, s15, s16
	s_delay_alu instid0(SALU_CYCLE_1) | instskip(NEXT) | instid1(SALU_CYCLE_1)
	s_add_co_i32 s2, s3, s2
	v_dual_mov_b32 v0, 0 :: v_dual_mov_b32 v1, s2
	s_wait_kmcnt 0x0
	global_store_b32 v0, v1, s[0:1]
.LBB1_10:
	s_endpgm
	.section	.rodata,"a",@progbits
	.p2align	6, 0x0
	.amdhsa_kernel _Z18benchmark_constantI15HIP_vector_typeIiLj2EEEvPii
		.amdhsa_group_segment_fixed_size 0
		.amdhsa_private_segment_fixed_size 0
		.amdhsa_kernarg_size 12
		.amdhsa_user_sgpr_count 2
		.amdhsa_user_sgpr_dispatch_ptr 0
		.amdhsa_user_sgpr_queue_ptr 0
		.amdhsa_user_sgpr_kernarg_segment_ptr 1
		.amdhsa_user_sgpr_dispatch_id 0
		.amdhsa_user_sgpr_kernarg_preload_length 0
		.amdhsa_user_sgpr_kernarg_preload_offset 0
		.amdhsa_user_sgpr_private_segment_size 0
		.amdhsa_wavefront_size32 1
		.amdhsa_uses_dynamic_stack 0
		.amdhsa_enable_private_segment 0
		.amdhsa_system_sgpr_workgroup_id_x 1
		.amdhsa_system_sgpr_workgroup_id_y 0
		.amdhsa_system_sgpr_workgroup_id_z 0
		.amdhsa_system_sgpr_workgroup_info 0
		.amdhsa_system_vgpr_workitem_id 0
		.amdhsa_next_free_vgpr 2
		.amdhsa_next_free_sgpr 56
		.amdhsa_named_barrier_count 0
		.amdhsa_reserve_vcc 0
		.amdhsa_float_round_mode_32 0
		.amdhsa_float_round_mode_16_64 0
		.amdhsa_float_denorm_mode_32 3
		.amdhsa_float_denorm_mode_16_64 3
		.amdhsa_fp16_overflow 0
		.amdhsa_memory_ordered 1
		.amdhsa_forward_progress 1
		.amdhsa_inst_pref_size 20
		.amdhsa_round_robin_scheduling 0
		.amdhsa_exception_fp_ieee_invalid_op 0
		.amdhsa_exception_fp_denorm_src 0
		.amdhsa_exception_fp_ieee_div_zero 0
		.amdhsa_exception_fp_ieee_overflow 0
		.amdhsa_exception_fp_ieee_underflow 0
		.amdhsa_exception_fp_ieee_inexact 0
		.amdhsa_exception_int_div_zero 0
	.end_amdhsa_kernel
	.section	.text._Z18benchmark_constantI15HIP_vector_typeIiLj2EEEvPii,"axG",@progbits,_Z18benchmark_constantI15HIP_vector_typeIiLj2EEEvPii,comdat
.Lfunc_end1:
	.size	_Z18benchmark_constantI15HIP_vector_typeIiLj2EEEvPii, .Lfunc_end1-_Z18benchmark_constantI15HIP_vector_typeIiLj2EEEvPii
                                        ; -- End function
	.set _Z18benchmark_constantI15HIP_vector_typeIiLj2EEEvPii.num_vgpr, 2
	.set _Z18benchmark_constantI15HIP_vector_typeIiLj2EEEvPii.num_agpr, 0
	.set _Z18benchmark_constantI15HIP_vector_typeIiLj2EEEvPii.numbered_sgpr, 56
	.set _Z18benchmark_constantI15HIP_vector_typeIiLj2EEEvPii.num_named_barrier, 0
	.set _Z18benchmark_constantI15HIP_vector_typeIiLj2EEEvPii.private_seg_size, 0
	.set _Z18benchmark_constantI15HIP_vector_typeIiLj2EEEvPii.uses_vcc, 0
	.set _Z18benchmark_constantI15HIP_vector_typeIiLj2EEEvPii.uses_flat_scratch, 0
	.set _Z18benchmark_constantI15HIP_vector_typeIiLj2EEEvPii.has_dyn_sized_stack, 0
	.set _Z18benchmark_constantI15HIP_vector_typeIiLj2EEEvPii.has_recursion, 0
	.set _Z18benchmark_constantI15HIP_vector_typeIiLj2EEEvPii.has_indirect_call, 0
	.section	.AMDGPU.csdata,"",@progbits
; Kernel info:
; codeLenInByte = 2512
; TotalNumSgprs: 56
; NumVgprs: 2
; ScratchSize: 0
; MemoryBound: 0
; FloatMode: 240
; IeeeMode: 1
; LDSByteSize: 0 bytes/workgroup (compile time only)
; SGPRBlocks: 0
; VGPRBlocks: 0
; NumSGPRsForWavesPerEU: 56
; NumVGPRsForWavesPerEU: 2
; NamedBarCnt: 0
; Occupancy: 16
; WaveLimiterHint : 0
; COMPUTE_PGM_RSRC2:SCRATCH_EN: 0
; COMPUTE_PGM_RSRC2:USER_SGPR: 2
; COMPUTE_PGM_RSRC2:TRAP_HANDLER: 0
; COMPUTE_PGM_RSRC2:TGID_X_EN: 1
; COMPUTE_PGM_RSRC2:TGID_Y_EN: 0
; COMPUTE_PGM_RSRC2:TGID_Z_EN: 0
; COMPUTE_PGM_RSRC2:TIDIG_COMP_CNT: 0
	.section	.text._Z18benchmark_constantI15HIP_vector_typeIiLj4EEEvPii,"axG",@progbits,_Z18benchmark_constantI15HIP_vector_typeIiLj4EEEvPii,comdat
	.protected	_Z18benchmark_constantI15HIP_vector_typeIiLj4EEEvPii ; -- Begin function _Z18benchmark_constantI15HIP_vector_typeIiLj4EEEvPii
	.globl	_Z18benchmark_constantI15HIP_vector_typeIiLj4EEEvPii
	.p2align	8
	.type	_Z18benchmark_constantI15HIP_vector_typeIiLj4EEEvPii,@function
_Z18benchmark_constantI15HIP_vector_typeIiLj4EEEvPii: ; @_Z18benchmark_constantI15HIP_vector_typeIiLj4EEEvPii
; %bb.0:
	s_mov_b32 s5, 0
	s_mov_b32 s2, 4
	;; [unrolled: 1-line block ×12, first 2 shown]
	s_get_pc_i64 s[6:7]
	s_add_nc_u64 s[6:7], s[6:7], constant_data@rel64+4
.LBB2_1:                                ; =>This Inner Loop Header: Depth=1
	s_lshl_b64 s[18:19], s[4:5], 4
	s_add_co_i32 s20, s2, 8
	s_add_co_i32 s22, s4, 8
	s_mov_b32 s23, s5
	s_mov_b32 s21, s5
	s_add_nc_u64 s[18:19], s[6:7], s[18:19]
	s_mov_b32 s3, s5
	s_lshl_b64 s[36:37], s[22:23], 4
	s_lshl_b64 s[38:39], s[20:21], 4
	s_load_b128 s[20:23], s[18:19], 0x0
	s_add_co_i32 s24, s2, 16
	s_add_co_i32 s26, s4, 16
	s_mov_b32 s27, s5
	s_mov_b32 s25, s5
	s_add_co_i32 s30, s4, 24
	s_mov_b32 s31, s5
	s_add_co_i32 s28, s2, 24
	s_mov_b32 s29, s5
	s_lshl_b64 s[34:35], s[2:3], 4
	s_lshl_b64 s[26:27], s[26:27], 4
	;; [unrolled: 1-line block ×5, first 2 shown]
	s_add_nc_u64 s[34:35], s[6:7], s[34:35]
	s_wait_xcnt 0x0
	s_add_nc_u64 s[18:19], s[6:7], s[36:37]
	s_add_nc_u64 s[44:45], s[6:7], s[38:39]
	;; [unrolled: 1-line block ×6, first 2 shown]
	s_clause 0x3
	s_load_b128 s[24:27], s[34:35], 0x0
	s_load_b128 s[28:31], s[18:19], 0x0
	s_load_b128 s[36:39], s[44:45], 0x0
	s_load_b128 s[40:43], s[46:47], 0x0
                                        ; kill: killed $sgpr46_sgpr47
                                        ; kill: killed $sgpr34_sgpr35
                                        ; kill: killed $sgpr18_sgpr19
                                        ; kill: killed $sgpr44_sgpr45
	s_wait_xcnt 0x0
	s_clause 0x1
	s_load_b128 s[44:47], s[52:53], 0x0
	s_load_b128 s[48:51], s[54:55], 0x0
                                        ; kill: killed $sgpr52_sgpr53
                                        ; kill: killed $sgpr54_sgpr55
	s_wait_xcnt 0x0
	s_load_b128 s[52:55], s[56:57], 0x0
	s_wait_kmcnt 0x0
	s_add_co_i32 s3, s20, s9
	s_add_co_i32 s9, s21, s11
	;; [unrolled: 1-line block ×4, first 2 shown]
	s_add_co_i32 s8, s8, -8
	s_add_co_i32 s4, s4, 32
	s_add_co_i32 s2, s2, 32
	s_add_co_i32 s10, s24, s10
	s_add_co_i32 s12, s25, s12
	s_add_co_i32 s14, s26, s14
	s_add_co_i32 s15, s27, s16
	s_add_co_i32 s3, s28, s3
	s_add_co_i32 s9, s29, s9
	s_add_co_i32 s11, s30, s11
	s_add_co_i32 s13, s31, s13
	s_add_co_i32 s10, s36, s10
	s_add_co_i32 s12, s37, s12
	s_add_co_i32 s14, s38, s14
	s_add_co_i32 s15, s39, s15
	s_add_co_i32 s3, s40, s3
	s_add_co_i32 s16, s41, s9
	s_add_co_i32 s17, s42, s11
	s_add_co_i32 s18, s43, s13
	s_add_co_i32 s10, s44, s10
	s_add_co_i32 s12, s45, s12
	s_add_co_i32 s14, s46, s14
	s_add_co_i32 s19, s47, s15
	s_add_co_i32 s9, s48, s3
	s_add_co_i32 s11, s49, s16
	s_add_co_i32 s13, s50, s17
	s_add_co_i32 s15, s51, s18
	s_add_co_i32 s10, s52, s10
	s_add_co_i32 s12, s53, s12
	s_add_co_i32 s14, s54, s14
	s_add_co_i32 s16, s55, s19
	s_cmp_lg_u32 s8, 0
	s_cbranch_scc1 .LBB2_1
; %bb.2:
	s_mov_b32 s5, 0
	s_add_co_i32 s9, s9, s10
	s_add_co_i32 s10, s11, s12
	;; [unrolled: 1-line block ×4, first 2 shown]
	s_mov_b32 s2, 4
	s_mov_b32 s8, 64
	;; [unrolled: 1-line block ×7, first 2 shown]
	s_get_pc_i64 s[6:7]
	s_add_nc_u64 s[6:7], s[6:7], constant_data@rel64+20
.LBB2_3:                                ; =>This Inner Loop Header: Depth=1
	s_lshl_b64 s[18:19], s[4:5], 4
	s_add_co_i32 s20, s2, 8
	s_add_co_i32 s22, s4, 8
	s_mov_b32 s23, s5
	s_mov_b32 s21, s5
	s_add_nc_u64 s[18:19], s[6:7], s[18:19]
	s_mov_b32 s3, s5
	s_lshl_b64 s[36:37], s[22:23], 4
	s_lshl_b64 s[38:39], s[20:21], 4
	s_load_b128 s[20:23], s[18:19], 0x0
	s_add_co_i32 s24, s2, 16
	s_add_co_i32 s26, s4, 16
	s_mov_b32 s27, s5
	s_mov_b32 s25, s5
	s_add_co_i32 s30, s4, 24
	s_mov_b32 s31, s5
	s_add_co_i32 s28, s2, 24
	s_mov_b32 s29, s5
	s_lshl_b64 s[34:35], s[2:3], 4
	s_lshl_b64 s[26:27], s[26:27], 4
	;; [unrolled: 1-line block ×5, first 2 shown]
	s_add_nc_u64 s[34:35], s[6:7], s[34:35]
	s_wait_xcnt 0x0
	s_add_nc_u64 s[18:19], s[6:7], s[36:37]
	s_add_nc_u64 s[44:45], s[6:7], s[38:39]
	;; [unrolled: 1-line block ×6, first 2 shown]
	s_clause 0x3
	s_load_b128 s[24:27], s[34:35], 0x0
	s_load_b128 s[28:31], s[18:19], 0x0
	;; [unrolled: 1-line block ×4, first 2 shown]
                                        ; kill: killed $sgpr46_sgpr47
                                        ; kill: killed $sgpr44_sgpr45
                                        ; kill: killed $sgpr18_sgpr19
                                        ; kill: killed $sgpr34_sgpr35
	s_wait_xcnt 0x0
	s_clause 0x1
	s_load_b128 s[44:47], s[52:53], 0x0
	s_load_b128 s[48:51], s[54:55], 0x0
                                        ; kill: killed $sgpr54_sgpr55
                                        ; kill: killed $sgpr52_sgpr53
	s_wait_xcnt 0x0
	s_load_b128 s[52:55], s[56:57], 0x0
	s_wait_kmcnt 0x0
	s_add_co_i32 s3, s20, s9
	s_add_co_i32 s9, s21, s10
	;; [unrolled: 1-line block ×4, first 2 shown]
	s_add_co_i32 s8, s8, -8
	s_add_co_i32 s4, s4, 32
	s_add_co_i32 s2, s2, 32
	;; [unrolled: 1-line block ×30, first 2 shown]
	s_cmp_lg_u32 s8, 0
	s_cbranch_scc1 .LBB2_3
; %bb.4:
	s_mov_b32 s5, 0
	s_add_co_i32 s9, s9, s13
	s_add_co_i32 s10, s10, s14
	;; [unrolled: 1-line block ×4, first 2 shown]
	s_mov_b32 s2, 4
	s_mov_b32 s8, 64
	;; [unrolled: 1-line block ×7, first 2 shown]
	s_get_pc_i64 s[6:7]
	s_add_nc_u64 s[6:7], s[6:7], constant_data@rel64+36
.LBB2_5:                                ; =>This Inner Loop Header: Depth=1
	s_lshl_b64 s[18:19], s[4:5], 4
	s_add_co_i32 s20, s2, 8
	s_add_co_i32 s22, s4, 8
	s_mov_b32 s23, s5
	s_mov_b32 s21, s5
	s_add_nc_u64 s[18:19], s[6:7], s[18:19]
	s_mov_b32 s3, s5
	s_lshl_b64 s[36:37], s[22:23], 4
	s_lshl_b64 s[38:39], s[20:21], 4
	s_load_b128 s[20:23], s[18:19], 0x0
	s_add_co_i32 s24, s2, 16
	s_add_co_i32 s26, s4, 16
	s_mov_b32 s27, s5
	s_mov_b32 s25, s5
	s_add_co_i32 s30, s4, 24
	s_mov_b32 s31, s5
	s_add_co_i32 s28, s2, 24
	s_mov_b32 s29, s5
	s_lshl_b64 s[34:35], s[2:3], 4
	s_lshl_b64 s[26:27], s[26:27], 4
	;; [unrolled: 1-line block ×5, first 2 shown]
	s_add_nc_u64 s[34:35], s[6:7], s[34:35]
	s_wait_xcnt 0x0
	s_add_nc_u64 s[18:19], s[6:7], s[36:37]
	s_add_nc_u64 s[44:45], s[6:7], s[38:39]
	;; [unrolled: 1-line block ×6, first 2 shown]
	s_clause 0x3
	s_load_b128 s[24:27], s[34:35], 0x0
	s_load_b128 s[28:31], s[18:19], 0x0
	;; [unrolled: 1-line block ×4, first 2 shown]
                                        ; kill: killed $sgpr18_sgpr19
                                        ; kill: killed $sgpr34_sgpr35
                                        ; kill: killed $sgpr46_sgpr47
                                        ; kill: killed $sgpr44_sgpr45
	s_wait_xcnt 0x0
	s_clause 0x1
	s_load_b128 s[44:47], s[52:53], 0x0
	s_load_b128 s[48:51], s[54:55], 0x0
                                        ; kill: killed $sgpr54_sgpr55
                                        ; kill: killed $sgpr52_sgpr53
	s_wait_xcnt 0x0
	s_load_b128 s[52:55], s[56:57], 0x0
	s_wait_kmcnt 0x0
	s_add_co_i32 s3, s20, s9
	s_add_co_i32 s9, s21, s10
	;; [unrolled: 1-line block ×4, first 2 shown]
	s_add_co_i32 s8, s8, -8
	s_add_co_i32 s4, s4, 32
	s_add_co_i32 s2, s2, 32
	s_add_co_i32 s12, s24, s13
	s_add_co_i32 s13, s25, s14
	s_add_co_i32 s14, s26, s15
	s_add_co_i32 s15, s27, s16
	s_add_co_i32 s3, s28, s3
	s_add_co_i32 s9, s29, s9
	s_add_co_i32 s10, s30, s10
	s_add_co_i32 s11, s31, s11
	s_add_co_i32 s12, s36, s12
	s_add_co_i32 s13, s37, s13
	s_add_co_i32 s14, s38, s14
	s_add_co_i32 s15, s39, s15
	s_add_co_i32 s3, s40, s3
	s_add_co_i32 s16, s41, s9
	s_add_co_i32 s17, s42, s10
	s_add_co_i32 s18, s43, s11
	s_add_co_i32 s19, s44, s12
	s_add_co_i32 s20, s45, s13
	s_add_co_i32 s21, s46, s14
	s_add_co_i32 s22, s47, s15
	s_add_co_i32 s9, s48, s3
	s_add_co_i32 s10, s49, s16
	s_add_co_i32 s11, s50, s17
	s_add_co_i32 s12, s51, s18
	s_add_co_i32 s13, s52, s19
	s_add_co_i32 s14, s53, s20
	s_add_co_i32 s15, s54, s21
	s_add_co_i32 s16, s55, s22
	s_cmp_lg_u32 s8, 0
	s_cbranch_scc1 .LBB2_5
; %bb.6:
	s_mov_b32 s5, 0
	s_add_co_i32 s8, s9, s13
	s_add_co_i32 s9, s10, s14
	;; [unrolled: 1-line block ×4, first 2 shown]
	s_mov_b32 s2, 4
	s_mov_b32 s12, 64
	;; [unrolled: 1-line block ×7, first 2 shown]
	s_get_pc_i64 s[6:7]
	s_add_nc_u64 s[6:7], s[6:7], constant_data@rel64+52
.LBB2_7:                                ; =>This Inner Loop Header: Depth=1
	s_lshl_b64 s[18:19], s[4:5], 4
	s_add_co_i32 s20, s2, 8
	s_add_co_i32 s22, s4, 8
	s_mov_b32 s23, s5
	s_mov_b32 s21, s5
	s_add_nc_u64 s[18:19], s[6:7], s[18:19]
	s_mov_b32 s3, s5
	s_lshl_b64 s[36:37], s[22:23], 4
	s_lshl_b64 s[38:39], s[20:21], 4
	s_load_b128 s[20:23], s[18:19], 0x0
	s_add_co_i32 s24, s2, 16
	s_add_co_i32 s26, s4, 16
	s_mov_b32 s27, s5
	s_mov_b32 s25, s5
	s_add_co_i32 s30, s4, 24
	s_mov_b32 s31, s5
	s_add_co_i32 s28, s2, 24
	s_mov_b32 s29, s5
	s_lshl_b64 s[34:35], s[2:3], 4
	s_lshl_b64 s[26:27], s[26:27], 4
	;; [unrolled: 1-line block ×5, first 2 shown]
	s_add_nc_u64 s[34:35], s[6:7], s[34:35]
	s_wait_xcnt 0x0
	s_add_nc_u64 s[18:19], s[6:7], s[36:37]
	s_add_nc_u64 s[44:45], s[6:7], s[38:39]
	;; [unrolled: 1-line block ×6, first 2 shown]
	s_clause 0x3
	s_load_b128 s[24:27], s[34:35], 0x0
	s_load_b128 s[28:31], s[18:19], 0x0
	;; [unrolled: 1-line block ×4, first 2 shown]
                                        ; kill: killed $sgpr46_sgpr47
                                        ; kill: killed $sgpr44_sgpr45
                                        ; kill: killed $sgpr18_sgpr19
                                        ; kill: killed $sgpr34_sgpr35
	s_wait_xcnt 0x0
	s_clause 0x1
	s_load_b128 s[44:47], s[52:53], 0x0
	s_load_b128 s[48:51], s[54:55], 0x0
                                        ; kill: killed $sgpr54_sgpr55
                                        ; kill: killed $sgpr52_sgpr53
	s_wait_xcnt 0x0
	s_load_b128 s[52:55], s[56:57], 0x0
	s_wait_kmcnt 0x0
	s_add_co_i32 s3, s20, s8
	s_add_co_i32 s8, s21, s9
	;; [unrolled: 1-line block ×4, first 2 shown]
	s_add_co_i32 s12, s12, -8
	s_add_co_i32 s4, s4, 32
	s_add_co_i32 s2, s2, 32
	;; [unrolled: 1-line block ×30, first 2 shown]
	s_cmp_lg_u32 s12, 0
	s_cbranch_scc1 .LBB2_7
; %bb.8:
	s_bfe_u32 s2, ttmp6, 0x4000c
	s_and_b32 s3, ttmp6, 15
	s_add_co_i32 s2, s2, 1
	s_getreg_b32 s4, hwreg(HW_REG_IB_STS2, 6, 4)
	s_mul_i32 s2, ttmp9, s2
	s_delay_alu instid0(SALU_CYCLE_1) | instskip(SKIP_2) | instid1(SALU_CYCLE_1)
	s_add_co_i32 s3, s3, s2
	s_cmp_eq_u32 s4, 0
	s_cselect_b32 s2, ttmp9, s3
	v_or_b32_e32 v0, s2, v0
	s_mov_b32 s2, exec_lo
	s_delay_alu instid0(VALU_DEP_1)
	v_cmpx_eq_u32_e32 0, v0
	s_cbranch_execz .LBB2_10
; %bb.9:
	s_load_b64 s[0:1], s[0:1], 0x0
	s_add_co_i32 s2, s15, s16
	s_add_co_i32 s3, s10, s11
	;; [unrolled: 1-line block ×6, first 2 shown]
	s_delay_alu instid0(SALU_CYCLE_1) | instskip(NEXT) | instid1(SALU_CYCLE_1)
	s_add_co_i32 s2, s3, s2
	v_dual_mov_b32 v0, 0 :: v_dual_mov_b32 v1, s2
	s_wait_kmcnt 0x0
	global_store_b32 v0, v1, s[0:1]
.LBB2_10:
	s_endpgm
	.section	.rodata,"a",@progbits
	.p2align	6, 0x0
	.amdhsa_kernel _Z18benchmark_constantI15HIP_vector_typeIiLj4EEEvPii
		.amdhsa_group_segment_fixed_size 0
		.amdhsa_private_segment_fixed_size 0
		.amdhsa_kernarg_size 12
		.amdhsa_user_sgpr_count 2
		.amdhsa_user_sgpr_dispatch_ptr 0
		.amdhsa_user_sgpr_queue_ptr 0
		.amdhsa_user_sgpr_kernarg_segment_ptr 1
		.amdhsa_user_sgpr_dispatch_id 0
		.amdhsa_user_sgpr_kernarg_preload_length 0
		.amdhsa_user_sgpr_kernarg_preload_offset 0
		.amdhsa_user_sgpr_private_segment_size 0
		.amdhsa_wavefront_size32 1
		.amdhsa_uses_dynamic_stack 0
		.amdhsa_enable_private_segment 0
		.amdhsa_system_sgpr_workgroup_id_x 1
		.amdhsa_system_sgpr_workgroup_id_y 0
		.amdhsa_system_sgpr_workgroup_id_z 0
		.amdhsa_system_sgpr_workgroup_info 0
		.amdhsa_system_vgpr_workitem_id 0
		.amdhsa_next_free_vgpr 2
		.amdhsa_next_free_sgpr 58
		.amdhsa_named_barrier_count 0
		.amdhsa_reserve_vcc 0
		.amdhsa_float_round_mode_32 0
		.amdhsa_float_round_mode_16_64 0
		.amdhsa_float_denorm_mode_32 3
		.amdhsa_float_denorm_mode_16_64 3
		.amdhsa_fp16_overflow 0
		.amdhsa_memory_ordered 1
		.amdhsa_forward_progress 1
		.amdhsa_inst_pref_size 14
		.amdhsa_round_robin_scheduling 0
		.amdhsa_exception_fp_ieee_invalid_op 0
		.amdhsa_exception_fp_denorm_src 0
		.amdhsa_exception_fp_ieee_div_zero 0
		.amdhsa_exception_fp_ieee_overflow 0
		.amdhsa_exception_fp_ieee_underflow 0
		.amdhsa_exception_fp_ieee_inexact 0
		.amdhsa_exception_int_div_zero 0
	.end_amdhsa_kernel
	.section	.text._Z18benchmark_constantI15HIP_vector_typeIiLj4EEEvPii,"axG",@progbits,_Z18benchmark_constantI15HIP_vector_typeIiLj4EEEvPii,comdat
.Lfunc_end2:
	.size	_Z18benchmark_constantI15HIP_vector_typeIiLj4EEEvPii, .Lfunc_end2-_Z18benchmark_constantI15HIP_vector_typeIiLj4EEEvPii
                                        ; -- End function
	.set _Z18benchmark_constantI15HIP_vector_typeIiLj4EEEvPii.num_vgpr, 2
	.set _Z18benchmark_constantI15HIP_vector_typeIiLj4EEEvPii.num_agpr, 0
	.set _Z18benchmark_constantI15HIP_vector_typeIiLj4EEEvPii.numbered_sgpr, 58
	.set _Z18benchmark_constantI15HIP_vector_typeIiLj4EEEvPii.num_named_barrier, 0
	.set _Z18benchmark_constantI15HIP_vector_typeIiLj4EEEvPii.private_seg_size, 0
	.set _Z18benchmark_constantI15HIP_vector_typeIiLj4EEEvPii.uses_vcc, 0
	.set _Z18benchmark_constantI15HIP_vector_typeIiLj4EEEvPii.uses_flat_scratch, 0
	.set _Z18benchmark_constantI15HIP_vector_typeIiLj4EEEvPii.has_dyn_sized_stack, 0
	.set _Z18benchmark_constantI15HIP_vector_typeIiLj4EEEvPii.has_recursion, 0
	.set _Z18benchmark_constantI15HIP_vector_typeIiLj4EEEvPii.has_indirect_call, 0
	.section	.AMDGPU.csdata,"",@progbits
; Kernel info:
; codeLenInByte = 1792
; TotalNumSgprs: 58
; NumVgprs: 2
; ScratchSize: 0
; MemoryBound: 0
; FloatMode: 240
; IeeeMode: 1
; LDSByteSize: 0 bytes/workgroup (compile time only)
; SGPRBlocks: 0
; VGPRBlocks: 0
; NumSGPRsForWavesPerEU: 58
; NumVGPRsForWavesPerEU: 2
; NamedBarCnt: 0
; Occupancy: 16
; WaveLimiterHint : 0
; COMPUTE_PGM_RSRC2:SCRATCH_EN: 0
; COMPUTE_PGM_RSRC2:USER_SGPR: 2
; COMPUTE_PGM_RSRC2:TRAP_HANDLER: 0
; COMPUTE_PGM_RSRC2:TGID_X_EN: 1
; COMPUTE_PGM_RSRC2:TGID_Y_EN: 0
; COMPUTE_PGM_RSRC2:TGID_Z_EN: 0
; COMPUTE_PGM_RSRC2:TIDIG_COMP_CNT: 0
	.section	.AMDGPU.gpr_maximums,"",@progbits
	.set amdgpu.max_num_vgpr, 0
	.set amdgpu.max_num_agpr, 0
	.set amdgpu.max_num_sgpr, 0
	.section	.AMDGPU.csdata,"",@progbits
	.protected	constant_data           ; @constant_data
	.type	constant_data,@object
	.section	.rodata,"a",@progbits
	.globl	constant_data
	.p2align	4, 0x0
constant_data:
	.zero	4096
	.size	constant_data, 4096

	.type	__hip_cuid_4bb04cee58e2c92a,@object ; @__hip_cuid_4bb04cee58e2c92a
	.section	.bss,"aw",@nobits
	.globl	__hip_cuid_4bb04cee58e2c92a
__hip_cuid_4bb04cee58e2c92a:
	.byte	0                               ; 0x0
	.size	__hip_cuid_4bb04cee58e2c92a, 1

	.ident	"AMD clang version 22.0.0git (https://github.com/RadeonOpenCompute/llvm-project roc-7.2.4 26084 f58b06dce1f9c15707c5f808fd002e18c2accf7e)"
	.section	".note.GNU-stack","",@progbits
	.addrsig
	.addrsig_sym constant_data
	.addrsig_sym __hip_cuid_4bb04cee58e2c92a
	.amdgpu_metadata
---
amdhsa.kernels:
  - .args:
      - .address_space:  global
        .offset:         0
        .size:           8
        .value_kind:     global_buffer
      - .offset:         8
        .size:           4
        .value_kind:     by_value
    .group_segment_fixed_size: 0
    .kernarg_segment_align: 8
    .kernarg_segment_size: 12
    .language:       OpenCL C
    .language_version:
      - 2
      - 0
    .max_flat_workgroup_size: 1024
    .name:           _Z18benchmark_constantIiEvPii
    .private_segment_fixed_size: 0
    .sgpr_count:     53
    .sgpr_spill_count: 0
    .symbol:         _Z18benchmark_constantIiEvPii.kd
    .uniform_work_group_size: 1
    .uses_dynamic_stack: false
    .vgpr_count:     2
    .vgpr_spill_count: 0
    .wavefront_size: 32
  - .args:
      - .address_space:  global
        .offset:         0
        .size:           8
        .value_kind:     global_buffer
      - .offset:         8
        .size:           4
        .value_kind:     by_value
    .group_segment_fixed_size: 0
    .kernarg_segment_align: 8
    .kernarg_segment_size: 12
    .language:       OpenCL C
    .language_version:
      - 2
      - 0
    .max_flat_workgroup_size: 1024
    .name:           _Z18benchmark_constantI15HIP_vector_typeIiLj2EEEvPii
    .private_segment_fixed_size: 0
    .sgpr_count:     56
    .sgpr_spill_count: 0
    .symbol:         _Z18benchmark_constantI15HIP_vector_typeIiLj2EEEvPii.kd
    .uniform_work_group_size: 1
    .uses_dynamic_stack: false
    .vgpr_count:     2
    .vgpr_spill_count: 0
    .wavefront_size: 32
  - .args:
      - .address_space:  global
        .offset:         0
        .size:           8
        .value_kind:     global_buffer
      - .offset:         8
        .size:           4
        .value_kind:     by_value
    .group_segment_fixed_size: 0
    .kernarg_segment_align: 8
    .kernarg_segment_size: 12
    .language:       OpenCL C
    .language_version:
      - 2
      - 0
    .max_flat_workgroup_size: 1024
    .name:           _Z18benchmark_constantI15HIP_vector_typeIiLj4EEEvPii
    .private_segment_fixed_size: 0
    .sgpr_count:     58
    .sgpr_spill_count: 0
    .symbol:         _Z18benchmark_constantI15HIP_vector_typeIiLj4EEEvPii.kd
    .uniform_work_group_size: 1
    .uses_dynamic_stack: false
    .vgpr_count:     2
    .vgpr_spill_count: 0
    .wavefront_size: 32
amdhsa.target:   amdgcn-amd-amdhsa--gfx1250
amdhsa.version:
  - 1
  - 2
...

	.end_amdgpu_metadata
